;; amdgpu-corpus repo=ROCm/rocSPARSE kind=compiled arch=gfx1250 opt=O3
	.amdgcn_target "amdgcn-amd-amdhsa--gfx1250"
	.amdhsa_code_object_version 6
	.section	.text._ZN9rocsparseL26gebsr2gebsc_permute_kernelILj512EfEEviiPKiPKT0_S2_PiPS3_,"axG",@progbits,_ZN9rocsparseL26gebsr2gebsc_permute_kernelILj512EfEEviiPKiPKT0_S2_PiPS3_,comdat
	.globl	_ZN9rocsparseL26gebsr2gebsc_permute_kernelILj512EfEEviiPKiPKT0_S2_PiPS3_ ; -- Begin function _ZN9rocsparseL26gebsr2gebsc_permute_kernelILj512EfEEviiPKiPKT0_S2_PiPS3_
	.p2align	8
	.type	_ZN9rocsparseL26gebsr2gebsc_permute_kernelILj512EfEEviiPKiPKT0_S2_PiPS3_,@function
_ZN9rocsparseL26gebsr2gebsc_permute_kernelILj512EfEEviiPKiPKT0_S2_PiPS3_: ; @_ZN9rocsparseL26gebsr2gebsc_permute_kernelILj512EfEEviiPKiPKT0_S2_PiPS3_
; %bb.0:
	s_load_b64 s[2:3], s[0:1], 0x0
	s_bfe_u32 s4, ttmp6, 0x4000c
	s_and_b32 s5, ttmp6, 15
	s_add_co_i32 s4, s4, 1
	s_getreg_b32 s6, hwreg(HW_REG_IB_STS2, 6, 4)
	s_mul_i32 s4, ttmp9, s4
	s_delay_alu instid0(SALU_CYCLE_1) | instskip(SKIP_2) | instid1(SALU_CYCLE_1)
	s_add_co_i32 s5, s5, s4
	s_cmp_eq_u32 s6, 0
	s_cselect_b32 s4, ttmp9, s5
	v_lshl_or_b32 v0, s4, 9, v0
	s_wait_kmcnt 0x0
	s_delay_alu instid0(VALU_DEP_1)
	v_cmp_gt_i32_e32 vcc_lo, s2, v0
	s_and_saveexec_b32 s2, vcc_lo
	s_cbranch_execz .LBB0_4
; %bb.1:
	s_load_b256 s[4:11], s[0:1], 0x8
	s_cmp_lt_i32 s3, 1
	s_wait_kmcnt 0x0
	global_load_b32 v1, v0, s[8:9] scale_offset
	s_wait_loadcnt 0x0
	global_load_b32 v2, v1, s[4:5] scale_offset
	s_wait_loadcnt 0x0
	global_store_b32 v0, v2, s[10:11] scale_offset
	s_cbranch_scc1 .LBB0_4
; %bb.2:
	s_load_b64 s[0:1], s[0:1], 0x28
	v_mul_lo_u32 v0, s3, v0
	v_mul_lo_u32 v2, v1, s3
	s_delay_alu instid0(VALU_DEP_1) | instskip(NEXT) | instid1(VALU_DEP_1)
	v_dual_ashrrev_i32 v1, 31, v0 :: v_dual_ashrrev_i32 v3, 31, v2
	v_lshl_add_u64 v[2:3], v[2:3], 2, s[6:7]
	s_wait_kmcnt 0x0
	s_delay_alu instid0(VALU_DEP_2)
	v_lshl_add_u64 v[0:1], v[0:1], 2, s[0:1]
.LBB0_3:                                ; =>This Inner Loop Header: Depth=1
	global_load_b32 v4, v[2:3], off
	s_wait_xcnt 0x0
	v_add_nc_u64_e32 v[2:3], 4, v[2:3]
	s_add_co_i32 s3, s3, -1
	s_delay_alu instid0(SALU_CYCLE_1)
	s_cmp_lg_u32 s3, 0
	s_wait_loadcnt 0x0
	global_store_b32 v[0:1], v4, off
	s_wait_xcnt 0x0
	v_add_nc_u64_e32 v[0:1], 4, v[0:1]
	s_cbranch_scc1 .LBB0_3
.LBB0_4:
	s_endpgm
	.section	.rodata,"a",@progbits
	.p2align	6, 0x0
	.amdhsa_kernel _ZN9rocsparseL26gebsr2gebsc_permute_kernelILj512EfEEviiPKiPKT0_S2_PiPS3_
		.amdhsa_group_segment_fixed_size 0
		.amdhsa_private_segment_fixed_size 0
		.amdhsa_kernarg_size 48
		.amdhsa_user_sgpr_count 2
		.amdhsa_user_sgpr_dispatch_ptr 0
		.amdhsa_user_sgpr_queue_ptr 0
		.amdhsa_user_sgpr_kernarg_segment_ptr 1
		.amdhsa_user_sgpr_dispatch_id 0
		.amdhsa_user_sgpr_kernarg_preload_length 0
		.amdhsa_user_sgpr_kernarg_preload_offset 0
		.amdhsa_user_sgpr_private_segment_size 0
		.amdhsa_wavefront_size32 1
		.amdhsa_uses_dynamic_stack 0
		.amdhsa_enable_private_segment 0
		.amdhsa_system_sgpr_workgroup_id_x 1
		.amdhsa_system_sgpr_workgroup_id_y 0
		.amdhsa_system_sgpr_workgroup_id_z 0
		.amdhsa_system_sgpr_workgroup_info 0
		.amdhsa_system_vgpr_workitem_id 0
		.amdhsa_next_free_vgpr 5
		.amdhsa_next_free_sgpr 12
		.amdhsa_named_barrier_count 0
		.amdhsa_reserve_vcc 1
		.amdhsa_float_round_mode_32 0
		.amdhsa_float_round_mode_16_64 0
		.amdhsa_float_denorm_mode_32 3
		.amdhsa_float_denorm_mode_16_64 3
		.amdhsa_fp16_overflow 0
		.amdhsa_memory_ordered 1
		.amdhsa_forward_progress 1
		.amdhsa_inst_pref_size 3
		.amdhsa_round_robin_scheduling 0
		.amdhsa_exception_fp_ieee_invalid_op 0
		.amdhsa_exception_fp_denorm_src 0
		.amdhsa_exception_fp_ieee_div_zero 0
		.amdhsa_exception_fp_ieee_overflow 0
		.amdhsa_exception_fp_ieee_underflow 0
		.amdhsa_exception_fp_ieee_inexact 0
		.amdhsa_exception_int_div_zero 0
	.end_amdhsa_kernel
	.section	.text._ZN9rocsparseL26gebsr2gebsc_permute_kernelILj512EfEEviiPKiPKT0_S2_PiPS3_,"axG",@progbits,_ZN9rocsparseL26gebsr2gebsc_permute_kernelILj512EfEEviiPKiPKT0_S2_PiPS3_,comdat
.Lfunc_end0:
	.size	_ZN9rocsparseL26gebsr2gebsc_permute_kernelILj512EfEEviiPKiPKT0_S2_PiPS3_, .Lfunc_end0-_ZN9rocsparseL26gebsr2gebsc_permute_kernelILj512EfEEviiPKiPKT0_S2_PiPS3_
                                        ; -- End function
	.set _ZN9rocsparseL26gebsr2gebsc_permute_kernelILj512EfEEviiPKiPKT0_S2_PiPS3_.num_vgpr, 5
	.set _ZN9rocsparseL26gebsr2gebsc_permute_kernelILj512EfEEviiPKiPKT0_S2_PiPS3_.num_agpr, 0
	.set _ZN9rocsparseL26gebsr2gebsc_permute_kernelILj512EfEEviiPKiPKT0_S2_PiPS3_.numbered_sgpr, 12
	.set _ZN9rocsparseL26gebsr2gebsc_permute_kernelILj512EfEEviiPKiPKT0_S2_PiPS3_.num_named_barrier, 0
	.set _ZN9rocsparseL26gebsr2gebsc_permute_kernelILj512EfEEviiPKiPKT0_S2_PiPS3_.private_seg_size, 0
	.set _ZN9rocsparseL26gebsr2gebsc_permute_kernelILj512EfEEviiPKiPKT0_S2_PiPS3_.uses_vcc, 1
	.set _ZN9rocsparseL26gebsr2gebsc_permute_kernelILj512EfEEviiPKiPKT0_S2_PiPS3_.uses_flat_scratch, 0
	.set _ZN9rocsparseL26gebsr2gebsc_permute_kernelILj512EfEEviiPKiPKT0_S2_PiPS3_.has_dyn_sized_stack, 0
	.set _ZN9rocsparseL26gebsr2gebsc_permute_kernelILj512EfEEviiPKiPKT0_S2_PiPS3_.has_recursion, 0
	.set _ZN9rocsparseL26gebsr2gebsc_permute_kernelILj512EfEEviiPKiPKT0_S2_PiPS3_.has_indirect_call, 0
	.section	.AMDGPU.csdata,"",@progbits
; Kernel info:
; codeLenInByte = 268
; TotalNumSgprs: 14
; NumVgprs: 5
; ScratchSize: 0
; MemoryBound: 0
; FloatMode: 240
; IeeeMode: 1
; LDSByteSize: 0 bytes/workgroup (compile time only)
; SGPRBlocks: 0
; VGPRBlocks: 0
; NumSGPRsForWavesPerEU: 14
; NumVGPRsForWavesPerEU: 5
; NamedBarCnt: 0
; Occupancy: 16
; WaveLimiterHint : 1
; COMPUTE_PGM_RSRC2:SCRATCH_EN: 0
; COMPUTE_PGM_RSRC2:USER_SGPR: 2
; COMPUTE_PGM_RSRC2:TRAP_HANDLER: 0
; COMPUTE_PGM_RSRC2:TGID_X_EN: 1
; COMPUTE_PGM_RSRC2:TGID_Y_EN: 0
; COMPUTE_PGM_RSRC2:TGID_Z_EN: 0
; COMPUTE_PGM_RSRC2:TIDIG_COMP_CNT: 0
	.section	.text._ZN9rocsparseL26gebsr2gebsc_permute_kernelILj512EdEEviiPKiPKT0_S2_PiPS3_,"axG",@progbits,_ZN9rocsparseL26gebsr2gebsc_permute_kernelILj512EdEEviiPKiPKT0_S2_PiPS3_,comdat
	.globl	_ZN9rocsparseL26gebsr2gebsc_permute_kernelILj512EdEEviiPKiPKT0_S2_PiPS3_ ; -- Begin function _ZN9rocsparseL26gebsr2gebsc_permute_kernelILj512EdEEviiPKiPKT0_S2_PiPS3_
	.p2align	8
	.type	_ZN9rocsparseL26gebsr2gebsc_permute_kernelILj512EdEEviiPKiPKT0_S2_PiPS3_,@function
_ZN9rocsparseL26gebsr2gebsc_permute_kernelILj512EdEEviiPKiPKT0_S2_PiPS3_: ; @_ZN9rocsparseL26gebsr2gebsc_permute_kernelILj512EdEEviiPKiPKT0_S2_PiPS3_
; %bb.0:
	s_load_b64 s[2:3], s[0:1], 0x0
	s_bfe_u32 s4, ttmp6, 0x4000c
	s_and_b32 s5, ttmp6, 15
	s_add_co_i32 s4, s4, 1
	s_getreg_b32 s6, hwreg(HW_REG_IB_STS2, 6, 4)
	s_mul_i32 s4, ttmp9, s4
	s_delay_alu instid0(SALU_CYCLE_1) | instskip(SKIP_2) | instid1(SALU_CYCLE_1)
	s_add_co_i32 s5, s5, s4
	s_cmp_eq_u32 s6, 0
	s_cselect_b32 s4, ttmp9, s5
	v_lshl_or_b32 v0, s4, 9, v0
	s_wait_kmcnt 0x0
	s_delay_alu instid0(VALU_DEP_1)
	v_cmp_gt_i32_e32 vcc_lo, s2, v0
	s_and_saveexec_b32 s2, vcc_lo
	s_cbranch_execz .LBB1_4
; %bb.1:
	s_load_b256 s[4:11], s[0:1], 0x8
	s_cmp_lt_i32 s3, 1
	s_wait_kmcnt 0x0
	global_load_b32 v1, v0, s[8:9] scale_offset
	s_wait_loadcnt 0x0
	global_load_b32 v2, v1, s[4:5] scale_offset
	s_wait_loadcnt 0x0
	global_store_b32 v0, v2, s[10:11] scale_offset
	s_cbranch_scc1 .LBB1_4
; %bb.2:
	s_load_b64 s[0:1], s[0:1], 0x28
	v_mul_lo_u32 v0, s3, v0
	v_mul_lo_u32 v2, v1, s3
	s_delay_alu instid0(VALU_DEP_1) | instskip(NEXT) | instid1(VALU_DEP_1)
	v_dual_ashrrev_i32 v1, 31, v0 :: v_dual_ashrrev_i32 v3, 31, v2
	v_lshl_add_u64 v[2:3], v[2:3], 3, s[6:7]
	s_wait_kmcnt 0x0
	s_delay_alu instid0(VALU_DEP_2)
	v_lshl_add_u64 v[0:1], v[0:1], 3, s[0:1]
.LBB1_3:                                ; =>This Inner Loop Header: Depth=1
	global_load_b64 v[4:5], v[2:3], off
	s_wait_xcnt 0x0
	v_add_nc_u64_e32 v[2:3], 8, v[2:3]
	s_add_co_i32 s3, s3, -1
	s_delay_alu instid0(SALU_CYCLE_1)
	s_cmp_lg_u32 s3, 0
	s_wait_loadcnt 0x0
	global_store_b64 v[0:1], v[4:5], off
	s_wait_xcnt 0x0
	v_add_nc_u64_e32 v[0:1], 8, v[0:1]
	s_cbranch_scc1 .LBB1_3
.LBB1_4:
	s_endpgm
	.section	.rodata,"a",@progbits
	.p2align	6, 0x0
	.amdhsa_kernel _ZN9rocsparseL26gebsr2gebsc_permute_kernelILj512EdEEviiPKiPKT0_S2_PiPS3_
		.amdhsa_group_segment_fixed_size 0
		.amdhsa_private_segment_fixed_size 0
		.amdhsa_kernarg_size 48
		.amdhsa_user_sgpr_count 2
		.amdhsa_user_sgpr_dispatch_ptr 0
		.amdhsa_user_sgpr_queue_ptr 0
		.amdhsa_user_sgpr_kernarg_segment_ptr 1
		.amdhsa_user_sgpr_dispatch_id 0
		.amdhsa_user_sgpr_kernarg_preload_length 0
		.amdhsa_user_sgpr_kernarg_preload_offset 0
		.amdhsa_user_sgpr_private_segment_size 0
		.amdhsa_wavefront_size32 1
		.amdhsa_uses_dynamic_stack 0
		.amdhsa_enable_private_segment 0
		.amdhsa_system_sgpr_workgroup_id_x 1
		.amdhsa_system_sgpr_workgroup_id_y 0
		.amdhsa_system_sgpr_workgroup_id_z 0
		.amdhsa_system_sgpr_workgroup_info 0
		.amdhsa_system_vgpr_workitem_id 0
		.amdhsa_next_free_vgpr 6
		.amdhsa_next_free_sgpr 12
		.amdhsa_named_barrier_count 0
		.amdhsa_reserve_vcc 1
		.amdhsa_float_round_mode_32 0
		.amdhsa_float_round_mode_16_64 0
		.amdhsa_float_denorm_mode_32 3
		.amdhsa_float_denorm_mode_16_64 3
		.amdhsa_fp16_overflow 0
		.amdhsa_memory_ordered 1
		.amdhsa_forward_progress 1
		.amdhsa_inst_pref_size 3
		.amdhsa_round_robin_scheduling 0
		.amdhsa_exception_fp_ieee_invalid_op 0
		.amdhsa_exception_fp_denorm_src 0
		.amdhsa_exception_fp_ieee_div_zero 0
		.amdhsa_exception_fp_ieee_overflow 0
		.amdhsa_exception_fp_ieee_underflow 0
		.amdhsa_exception_fp_ieee_inexact 0
		.amdhsa_exception_int_div_zero 0
	.end_amdhsa_kernel
	.section	.text._ZN9rocsparseL26gebsr2gebsc_permute_kernelILj512EdEEviiPKiPKT0_S2_PiPS3_,"axG",@progbits,_ZN9rocsparseL26gebsr2gebsc_permute_kernelILj512EdEEviiPKiPKT0_S2_PiPS3_,comdat
.Lfunc_end1:
	.size	_ZN9rocsparseL26gebsr2gebsc_permute_kernelILj512EdEEviiPKiPKT0_S2_PiPS3_, .Lfunc_end1-_ZN9rocsparseL26gebsr2gebsc_permute_kernelILj512EdEEviiPKiPKT0_S2_PiPS3_
                                        ; -- End function
	.set _ZN9rocsparseL26gebsr2gebsc_permute_kernelILj512EdEEviiPKiPKT0_S2_PiPS3_.num_vgpr, 6
	.set _ZN9rocsparseL26gebsr2gebsc_permute_kernelILj512EdEEviiPKiPKT0_S2_PiPS3_.num_agpr, 0
	.set _ZN9rocsparseL26gebsr2gebsc_permute_kernelILj512EdEEviiPKiPKT0_S2_PiPS3_.numbered_sgpr, 12
	.set _ZN9rocsparseL26gebsr2gebsc_permute_kernelILj512EdEEviiPKiPKT0_S2_PiPS3_.num_named_barrier, 0
	.set _ZN9rocsparseL26gebsr2gebsc_permute_kernelILj512EdEEviiPKiPKT0_S2_PiPS3_.private_seg_size, 0
	.set _ZN9rocsparseL26gebsr2gebsc_permute_kernelILj512EdEEviiPKiPKT0_S2_PiPS3_.uses_vcc, 1
	.set _ZN9rocsparseL26gebsr2gebsc_permute_kernelILj512EdEEviiPKiPKT0_S2_PiPS3_.uses_flat_scratch, 0
	.set _ZN9rocsparseL26gebsr2gebsc_permute_kernelILj512EdEEviiPKiPKT0_S2_PiPS3_.has_dyn_sized_stack, 0
	.set _ZN9rocsparseL26gebsr2gebsc_permute_kernelILj512EdEEviiPKiPKT0_S2_PiPS3_.has_recursion, 0
	.set _ZN9rocsparseL26gebsr2gebsc_permute_kernelILj512EdEEviiPKiPKT0_S2_PiPS3_.has_indirect_call, 0
	.section	.AMDGPU.csdata,"",@progbits
; Kernel info:
; codeLenInByte = 268
; TotalNumSgprs: 14
; NumVgprs: 6
; ScratchSize: 0
; MemoryBound: 0
; FloatMode: 240
; IeeeMode: 1
; LDSByteSize: 0 bytes/workgroup (compile time only)
; SGPRBlocks: 0
; VGPRBlocks: 0
; NumSGPRsForWavesPerEU: 14
; NumVGPRsForWavesPerEU: 6
; NamedBarCnt: 0
; Occupancy: 16
; WaveLimiterHint : 1
; COMPUTE_PGM_RSRC2:SCRATCH_EN: 0
; COMPUTE_PGM_RSRC2:USER_SGPR: 2
; COMPUTE_PGM_RSRC2:TRAP_HANDLER: 0
; COMPUTE_PGM_RSRC2:TGID_X_EN: 1
; COMPUTE_PGM_RSRC2:TGID_Y_EN: 0
; COMPUTE_PGM_RSRC2:TGID_Z_EN: 0
; COMPUTE_PGM_RSRC2:TIDIG_COMP_CNT: 0
	.section	.text._ZN9rocsparseL26gebsr2gebsc_permute_kernelILj512E21rocsparse_complex_numIfEEEviiPKiPKT0_S4_PiPS5_,"axG",@progbits,_ZN9rocsparseL26gebsr2gebsc_permute_kernelILj512E21rocsparse_complex_numIfEEEviiPKiPKT0_S4_PiPS5_,comdat
	.globl	_ZN9rocsparseL26gebsr2gebsc_permute_kernelILj512E21rocsparse_complex_numIfEEEviiPKiPKT0_S4_PiPS5_ ; -- Begin function _ZN9rocsparseL26gebsr2gebsc_permute_kernelILj512E21rocsparse_complex_numIfEEEviiPKiPKT0_S4_PiPS5_
	.p2align	8
	.type	_ZN9rocsparseL26gebsr2gebsc_permute_kernelILj512E21rocsparse_complex_numIfEEEviiPKiPKT0_S4_PiPS5_,@function
_ZN9rocsparseL26gebsr2gebsc_permute_kernelILj512E21rocsparse_complex_numIfEEEviiPKiPKT0_S4_PiPS5_: ; @_ZN9rocsparseL26gebsr2gebsc_permute_kernelILj512E21rocsparse_complex_numIfEEEviiPKiPKT0_S4_PiPS5_
; %bb.0:
	s_load_b64 s[2:3], s[0:1], 0x0
	s_bfe_u32 s4, ttmp6, 0x4000c
	s_and_b32 s5, ttmp6, 15
	s_add_co_i32 s4, s4, 1
	s_getreg_b32 s6, hwreg(HW_REG_IB_STS2, 6, 4)
	s_mul_i32 s4, ttmp9, s4
	s_delay_alu instid0(SALU_CYCLE_1) | instskip(SKIP_2) | instid1(SALU_CYCLE_1)
	s_add_co_i32 s5, s5, s4
	s_cmp_eq_u32 s6, 0
	s_cselect_b32 s4, ttmp9, s5
	v_lshl_or_b32 v0, s4, 9, v0
	s_wait_kmcnt 0x0
	s_delay_alu instid0(VALU_DEP_1)
	v_cmp_gt_i32_e32 vcc_lo, s2, v0
	s_and_saveexec_b32 s2, vcc_lo
	s_cbranch_execz .LBB2_4
; %bb.1:
	s_load_b256 s[4:11], s[0:1], 0x8
	s_cmp_lt_i32 s3, 1
	s_wait_kmcnt 0x0
	global_load_b32 v1, v0, s[8:9] scale_offset
	s_wait_loadcnt 0x0
	global_load_b32 v2, v1, s[4:5] scale_offset
	s_wait_loadcnt 0x0
	global_store_b32 v0, v2, s[10:11] scale_offset
	s_cbranch_scc1 .LBB2_4
; %bb.2:
	s_load_b64 s[0:1], s[0:1], 0x28
	v_mul_lo_u32 v0, s3, v0
	v_mul_lo_u32 v2, v1, s3
	s_delay_alu instid0(VALU_DEP_1) | instskip(NEXT) | instid1(VALU_DEP_1)
	v_dual_ashrrev_i32 v1, 31, v0 :: v_dual_ashrrev_i32 v3, 31, v2
	v_lshl_add_u64 v[2:3], v[2:3], 3, s[6:7]
	s_wait_kmcnt 0x0
	s_delay_alu instid0(VALU_DEP_2)
	v_lshl_add_u64 v[0:1], v[0:1], 3, s[0:1]
.LBB2_3:                                ; =>This Inner Loop Header: Depth=1
	global_load_b64 v[4:5], v[2:3], off
	s_wait_xcnt 0x0
	v_add_nc_u64_e32 v[2:3], 8, v[2:3]
	s_add_co_i32 s3, s3, -1
	s_delay_alu instid0(SALU_CYCLE_1)
	s_cmp_lg_u32 s3, 0
	s_wait_loadcnt 0x0
	global_store_b64 v[0:1], v[4:5], off
	s_wait_xcnt 0x0
	v_add_nc_u64_e32 v[0:1], 8, v[0:1]
	s_cbranch_scc1 .LBB2_3
.LBB2_4:
	s_endpgm
	.section	.rodata,"a",@progbits
	.p2align	6, 0x0
	.amdhsa_kernel _ZN9rocsparseL26gebsr2gebsc_permute_kernelILj512E21rocsparse_complex_numIfEEEviiPKiPKT0_S4_PiPS5_
		.amdhsa_group_segment_fixed_size 0
		.amdhsa_private_segment_fixed_size 0
		.amdhsa_kernarg_size 48
		.amdhsa_user_sgpr_count 2
		.amdhsa_user_sgpr_dispatch_ptr 0
		.amdhsa_user_sgpr_queue_ptr 0
		.amdhsa_user_sgpr_kernarg_segment_ptr 1
		.amdhsa_user_sgpr_dispatch_id 0
		.amdhsa_user_sgpr_kernarg_preload_length 0
		.amdhsa_user_sgpr_kernarg_preload_offset 0
		.amdhsa_user_sgpr_private_segment_size 0
		.amdhsa_wavefront_size32 1
		.amdhsa_uses_dynamic_stack 0
		.amdhsa_enable_private_segment 0
		.amdhsa_system_sgpr_workgroup_id_x 1
		.amdhsa_system_sgpr_workgroup_id_y 0
		.amdhsa_system_sgpr_workgroup_id_z 0
		.amdhsa_system_sgpr_workgroup_info 0
		.amdhsa_system_vgpr_workitem_id 0
		.amdhsa_next_free_vgpr 6
		.amdhsa_next_free_sgpr 12
		.amdhsa_named_barrier_count 0
		.amdhsa_reserve_vcc 1
		.amdhsa_float_round_mode_32 0
		.amdhsa_float_round_mode_16_64 0
		.amdhsa_float_denorm_mode_32 3
		.amdhsa_float_denorm_mode_16_64 3
		.amdhsa_fp16_overflow 0
		.amdhsa_memory_ordered 1
		.amdhsa_forward_progress 1
		.amdhsa_inst_pref_size 3
		.amdhsa_round_robin_scheduling 0
		.amdhsa_exception_fp_ieee_invalid_op 0
		.amdhsa_exception_fp_denorm_src 0
		.amdhsa_exception_fp_ieee_div_zero 0
		.amdhsa_exception_fp_ieee_overflow 0
		.amdhsa_exception_fp_ieee_underflow 0
		.amdhsa_exception_fp_ieee_inexact 0
		.amdhsa_exception_int_div_zero 0
	.end_amdhsa_kernel
	.section	.text._ZN9rocsparseL26gebsr2gebsc_permute_kernelILj512E21rocsparse_complex_numIfEEEviiPKiPKT0_S4_PiPS5_,"axG",@progbits,_ZN9rocsparseL26gebsr2gebsc_permute_kernelILj512E21rocsparse_complex_numIfEEEviiPKiPKT0_S4_PiPS5_,comdat
.Lfunc_end2:
	.size	_ZN9rocsparseL26gebsr2gebsc_permute_kernelILj512E21rocsparse_complex_numIfEEEviiPKiPKT0_S4_PiPS5_, .Lfunc_end2-_ZN9rocsparseL26gebsr2gebsc_permute_kernelILj512E21rocsparse_complex_numIfEEEviiPKiPKT0_S4_PiPS5_
                                        ; -- End function
	.set _ZN9rocsparseL26gebsr2gebsc_permute_kernelILj512E21rocsparse_complex_numIfEEEviiPKiPKT0_S4_PiPS5_.num_vgpr, 6
	.set _ZN9rocsparseL26gebsr2gebsc_permute_kernelILj512E21rocsparse_complex_numIfEEEviiPKiPKT0_S4_PiPS5_.num_agpr, 0
	.set _ZN9rocsparseL26gebsr2gebsc_permute_kernelILj512E21rocsparse_complex_numIfEEEviiPKiPKT0_S4_PiPS5_.numbered_sgpr, 12
	.set _ZN9rocsparseL26gebsr2gebsc_permute_kernelILj512E21rocsparse_complex_numIfEEEviiPKiPKT0_S4_PiPS5_.num_named_barrier, 0
	.set _ZN9rocsparseL26gebsr2gebsc_permute_kernelILj512E21rocsparse_complex_numIfEEEviiPKiPKT0_S4_PiPS5_.private_seg_size, 0
	.set _ZN9rocsparseL26gebsr2gebsc_permute_kernelILj512E21rocsparse_complex_numIfEEEviiPKiPKT0_S4_PiPS5_.uses_vcc, 1
	.set _ZN9rocsparseL26gebsr2gebsc_permute_kernelILj512E21rocsparse_complex_numIfEEEviiPKiPKT0_S4_PiPS5_.uses_flat_scratch, 0
	.set _ZN9rocsparseL26gebsr2gebsc_permute_kernelILj512E21rocsparse_complex_numIfEEEviiPKiPKT0_S4_PiPS5_.has_dyn_sized_stack, 0
	.set _ZN9rocsparseL26gebsr2gebsc_permute_kernelILj512E21rocsparse_complex_numIfEEEviiPKiPKT0_S4_PiPS5_.has_recursion, 0
	.set _ZN9rocsparseL26gebsr2gebsc_permute_kernelILj512E21rocsparse_complex_numIfEEEviiPKiPKT0_S4_PiPS5_.has_indirect_call, 0
	.section	.AMDGPU.csdata,"",@progbits
; Kernel info:
; codeLenInByte = 268
; TotalNumSgprs: 14
; NumVgprs: 6
; ScratchSize: 0
; MemoryBound: 0
; FloatMode: 240
; IeeeMode: 1
; LDSByteSize: 0 bytes/workgroup (compile time only)
; SGPRBlocks: 0
; VGPRBlocks: 0
; NumSGPRsForWavesPerEU: 14
; NumVGPRsForWavesPerEU: 6
; NamedBarCnt: 0
; Occupancy: 16
; WaveLimiterHint : 1
; COMPUTE_PGM_RSRC2:SCRATCH_EN: 0
; COMPUTE_PGM_RSRC2:USER_SGPR: 2
; COMPUTE_PGM_RSRC2:TRAP_HANDLER: 0
; COMPUTE_PGM_RSRC2:TGID_X_EN: 1
; COMPUTE_PGM_RSRC2:TGID_Y_EN: 0
; COMPUTE_PGM_RSRC2:TGID_Z_EN: 0
; COMPUTE_PGM_RSRC2:TIDIG_COMP_CNT: 0
	.section	.text._ZN9rocsparseL26gebsr2gebsc_permute_kernelILj512E21rocsparse_complex_numIdEEEviiPKiPKT0_S4_PiPS5_,"axG",@progbits,_ZN9rocsparseL26gebsr2gebsc_permute_kernelILj512E21rocsparse_complex_numIdEEEviiPKiPKT0_S4_PiPS5_,comdat
	.globl	_ZN9rocsparseL26gebsr2gebsc_permute_kernelILj512E21rocsparse_complex_numIdEEEviiPKiPKT0_S4_PiPS5_ ; -- Begin function _ZN9rocsparseL26gebsr2gebsc_permute_kernelILj512E21rocsparse_complex_numIdEEEviiPKiPKT0_S4_PiPS5_
	.p2align	8
	.type	_ZN9rocsparseL26gebsr2gebsc_permute_kernelILj512E21rocsparse_complex_numIdEEEviiPKiPKT0_S4_PiPS5_,@function
_ZN9rocsparseL26gebsr2gebsc_permute_kernelILj512E21rocsparse_complex_numIdEEEviiPKiPKT0_S4_PiPS5_: ; @_ZN9rocsparseL26gebsr2gebsc_permute_kernelILj512E21rocsparse_complex_numIdEEEviiPKiPKT0_S4_PiPS5_
; %bb.0:
	s_load_b64 s[2:3], s[0:1], 0x0
	s_bfe_u32 s4, ttmp6, 0x4000c
	s_and_b32 s5, ttmp6, 15
	s_add_co_i32 s4, s4, 1
	s_getreg_b32 s6, hwreg(HW_REG_IB_STS2, 6, 4)
	s_mul_i32 s4, ttmp9, s4
	s_delay_alu instid0(SALU_CYCLE_1) | instskip(SKIP_2) | instid1(SALU_CYCLE_1)
	s_add_co_i32 s5, s5, s4
	s_cmp_eq_u32 s6, 0
	s_cselect_b32 s4, ttmp9, s5
	v_lshl_or_b32 v0, s4, 9, v0
	s_wait_kmcnt 0x0
	s_delay_alu instid0(VALU_DEP_1)
	v_cmp_gt_i32_e32 vcc_lo, s2, v0
	s_and_saveexec_b32 s2, vcc_lo
	s_cbranch_execz .LBB3_4
; %bb.1:
	s_load_b256 s[4:11], s[0:1], 0x8
	s_cmp_lt_i32 s3, 1
	s_wait_kmcnt 0x0
	global_load_b32 v1, v0, s[8:9] scale_offset
	s_wait_loadcnt 0x0
	global_load_b32 v2, v1, s[4:5] scale_offset
	s_wait_loadcnt 0x0
	global_store_b32 v0, v2, s[10:11] scale_offset
	s_cbranch_scc1 .LBB3_4
; %bb.2:
	s_load_b64 s[0:1], s[0:1], 0x28
	v_mul_lo_u32 v0, s3, v0
	v_mul_lo_u32 v2, v1, s3
	s_delay_alu instid0(VALU_DEP_1) | instskip(NEXT) | instid1(VALU_DEP_1)
	v_dual_ashrrev_i32 v1, 31, v0 :: v_dual_ashrrev_i32 v3, 31, v2
	v_lshl_add_u64 v[2:3], v[2:3], 4, s[6:7]
	s_wait_kmcnt 0x0
	s_delay_alu instid0(VALU_DEP_2)
	v_lshl_add_u64 v[0:1], v[0:1], 4, s[0:1]
.LBB3_3:                                ; =>This Inner Loop Header: Depth=1
	global_load_b128 v[4:7], v[2:3], off
	s_wait_xcnt 0x0
	v_add_nc_u64_e32 v[2:3], 16, v[2:3]
	s_add_co_i32 s3, s3, -1
	s_delay_alu instid0(SALU_CYCLE_1)
	s_cmp_lg_u32 s3, 0
	s_wait_loadcnt 0x0
	global_store_b128 v[0:1], v[4:7], off
	s_wait_xcnt 0x0
	v_add_nc_u64_e32 v[0:1], 16, v[0:1]
	s_cbranch_scc1 .LBB3_3
.LBB3_4:
	s_endpgm
	.section	.rodata,"a",@progbits
	.p2align	6, 0x0
	.amdhsa_kernel _ZN9rocsparseL26gebsr2gebsc_permute_kernelILj512E21rocsparse_complex_numIdEEEviiPKiPKT0_S4_PiPS5_
		.amdhsa_group_segment_fixed_size 0
		.amdhsa_private_segment_fixed_size 0
		.amdhsa_kernarg_size 48
		.amdhsa_user_sgpr_count 2
		.amdhsa_user_sgpr_dispatch_ptr 0
		.amdhsa_user_sgpr_queue_ptr 0
		.amdhsa_user_sgpr_kernarg_segment_ptr 1
		.amdhsa_user_sgpr_dispatch_id 0
		.amdhsa_user_sgpr_kernarg_preload_length 0
		.amdhsa_user_sgpr_kernarg_preload_offset 0
		.amdhsa_user_sgpr_private_segment_size 0
		.amdhsa_wavefront_size32 1
		.amdhsa_uses_dynamic_stack 0
		.amdhsa_enable_private_segment 0
		.amdhsa_system_sgpr_workgroup_id_x 1
		.amdhsa_system_sgpr_workgroup_id_y 0
		.amdhsa_system_sgpr_workgroup_id_z 0
		.amdhsa_system_sgpr_workgroup_info 0
		.amdhsa_system_vgpr_workitem_id 0
		.amdhsa_next_free_vgpr 8
		.amdhsa_next_free_sgpr 12
		.amdhsa_named_barrier_count 0
		.amdhsa_reserve_vcc 1
		.amdhsa_float_round_mode_32 0
		.amdhsa_float_round_mode_16_64 0
		.amdhsa_float_denorm_mode_32 3
		.amdhsa_float_denorm_mode_16_64 3
		.amdhsa_fp16_overflow 0
		.amdhsa_memory_ordered 1
		.amdhsa_forward_progress 1
		.amdhsa_inst_pref_size 3
		.amdhsa_round_robin_scheduling 0
		.amdhsa_exception_fp_ieee_invalid_op 0
		.amdhsa_exception_fp_denorm_src 0
		.amdhsa_exception_fp_ieee_div_zero 0
		.amdhsa_exception_fp_ieee_overflow 0
		.amdhsa_exception_fp_ieee_underflow 0
		.amdhsa_exception_fp_ieee_inexact 0
		.amdhsa_exception_int_div_zero 0
	.end_amdhsa_kernel
	.section	.text._ZN9rocsparseL26gebsr2gebsc_permute_kernelILj512E21rocsparse_complex_numIdEEEviiPKiPKT0_S4_PiPS5_,"axG",@progbits,_ZN9rocsparseL26gebsr2gebsc_permute_kernelILj512E21rocsparse_complex_numIdEEEviiPKiPKT0_S4_PiPS5_,comdat
.Lfunc_end3:
	.size	_ZN9rocsparseL26gebsr2gebsc_permute_kernelILj512E21rocsparse_complex_numIdEEEviiPKiPKT0_S4_PiPS5_, .Lfunc_end3-_ZN9rocsparseL26gebsr2gebsc_permute_kernelILj512E21rocsparse_complex_numIdEEEviiPKiPKT0_S4_PiPS5_
                                        ; -- End function
	.set _ZN9rocsparseL26gebsr2gebsc_permute_kernelILj512E21rocsparse_complex_numIdEEEviiPKiPKT0_S4_PiPS5_.num_vgpr, 8
	.set _ZN9rocsparseL26gebsr2gebsc_permute_kernelILj512E21rocsparse_complex_numIdEEEviiPKiPKT0_S4_PiPS5_.num_agpr, 0
	.set _ZN9rocsparseL26gebsr2gebsc_permute_kernelILj512E21rocsparse_complex_numIdEEEviiPKiPKT0_S4_PiPS5_.numbered_sgpr, 12
	.set _ZN9rocsparseL26gebsr2gebsc_permute_kernelILj512E21rocsparse_complex_numIdEEEviiPKiPKT0_S4_PiPS5_.num_named_barrier, 0
	.set _ZN9rocsparseL26gebsr2gebsc_permute_kernelILj512E21rocsparse_complex_numIdEEEviiPKiPKT0_S4_PiPS5_.private_seg_size, 0
	.set _ZN9rocsparseL26gebsr2gebsc_permute_kernelILj512E21rocsparse_complex_numIdEEEviiPKiPKT0_S4_PiPS5_.uses_vcc, 1
	.set _ZN9rocsparseL26gebsr2gebsc_permute_kernelILj512E21rocsparse_complex_numIdEEEviiPKiPKT0_S4_PiPS5_.uses_flat_scratch, 0
	.set _ZN9rocsparseL26gebsr2gebsc_permute_kernelILj512E21rocsparse_complex_numIdEEEviiPKiPKT0_S4_PiPS5_.has_dyn_sized_stack, 0
	.set _ZN9rocsparseL26gebsr2gebsc_permute_kernelILj512E21rocsparse_complex_numIdEEEviiPKiPKT0_S4_PiPS5_.has_recursion, 0
	.set _ZN9rocsparseL26gebsr2gebsc_permute_kernelILj512E21rocsparse_complex_numIdEEEviiPKiPKT0_S4_PiPS5_.has_indirect_call, 0
	.section	.AMDGPU.csdata,"",@progbits
; Kernel info:
; codeLenInByte = 268
; TotalNumSgprs: 14
; NumVgprs: 8
; ScratchSize: 0
; MemoryBound: 0
; FloatMode: 240
; IeeeMode: 1
; LDSByteSize: 0 bytes/workgroup (compile time only)
; SGPRBlocks: 0
; VGPRBlocks: 0
; NumSGPRsForWavesPerEU: 14
; NumVGPRsForWavesPerEU: 8
; NamedBarCnt: 0
; Occupancy: 16
; WaveLimiterHint : 1
; COMPUTE_PGM_RSRC2:SCRATCH_EN: 0
; COMPUTE_PGM_RSRC2:USER_SGPR: 2
; COMPUTE_PGM_RSRC2:TRAP_HANDLER: 0
; COMPUTE_PGM_RSRC2:TGID_X_EN: 1
; COMPUTE_PGM_RSRC2:TGID_Y_EN: 0
; COMPUTE_PGM_RSRC2:TGID_Z_EN: 0
; COMPUTE_PGM_RSRC2:TIDIG_COMP_CNT: 0
	.section	.AMDGPU.gpr_maximums,"",@progbits
	.set amdgpu.max_num_vgpr, 0
	.set amdgpu.max_num_agpr, 0
	.set amdgpu.max_num_sgpr, 0
	.section	.AMDGPU.csdata,"",@progbits
	.type	__hip_cuid_9b094416faf9f996,@object ; @__hip_cuid_9b094416faf9f996
	.section	.bss,"aw",@nobits
	.globl	__hip_cuid_9b094416faf9f996
__hip_cuid_9b094416faf9f996:
	.byte	0                               ; 0x0
	.size	__hip_cuid_9b094416faf9f996, 1

	.ident	"AMD clang version 22.0.0git (https://github.com/RadeonOpenCompute/llvm-project roc-7.2.4 26084 f58b06dce1f9c15707c5f808fd002e18c2accf7e)"
	.section	".note.GNU-stack","",@progbits
	.addrsig
	.addrsig_sym __hip_cuid_9b094416faf9f996
	.amdgpu_metadata
---
amdhsa.kernels:
  - .args:
      - .offset:         0
        .size:           4
        .value_kind:     by_value
      - .offset:         4
        .size:           4
        .value_kind:     by_value
      - .address_space:  global
        .offset:         8
        .size:           8
        .value_kind:     global_buffer
      - .address_space:  global
        .offset:         16
        .size:           8
        .value_kind:     global_buffer
      - .address_space:  global
        .offset:         24
        .size:           8
        .value_kind:     global_buffer
      - .address_space:  global
        .offset:         32
        .size:           8
        .value_kind:     global_buffer
      - .address_space:  global
        .offset:         40
        .size:           8
        .value_kind:     global_buffer
    .group_segment_fixed_size: 0
    .kernarg_segment_align: 8
    .kernarg_segment_size: 48
    .language:       OpenCL C
    .language_version:
      - 2
      - 0
    .max_flat_workgroup_size: 512
    .name:           _ZN9rocsparseL26gebsr2gebsc_permute_kernelILj512EfEEviiPKiPKT0_S2_PiPS3_
    .private_segment_fixed_size: 0
    .sgpr_count:     14
    .sgpr_spill_count: 0
    .symbol:         _ZN9rocsparseL26gebsr2gebsc_permute_kernelILj512EfEEviiPKiPKT0_S2_PiPS3_.kd
    .uniform_work_group_size: 1
    .uses_dynamic_stack: false
    .vgpr_count:     5
    .vgpr_spill_count: 0
    .wavefront_size: 32
  - .args:
      - .offset:         0
        .size:           4
        .value_kind:     by_value
      - .offset:         4
        .size:           4
        .value_kind:     by_value
      - .address_space:  global
        .offset:         8
        .size:           8
        .value_kind:     global_buffer
      - .address_space:  global
        .offset:         16
        .size:           8
        .value_kind:     global_buffer
      - .address_space:  global
        .offset:         24
        .size:           8
        .value_kind:     global_buffer
      - .address_space:  global
        .offset:         32
        .size:           8
        .value_kind:     global_buffer
      - .address_space:  global
        .offset:         40
        .size:           8
        .value_kind:     global_buffer
    .group_segment_fixed_size: 0
    .kernarg_segment_align: 8
    .kernarg_segment_size: 48
    .language:       OpenCL C
    .language_version:
      - 2
      - 0
    .max_flat_workgroup_size: 512
    .name:           _ZN9rocsparseL26gebsr2gebsc_permute_kernelILj512EdEEviiPKiPKT0_S2_PiPS3_
    .private_segment_fixed_size: 0
    .sgpr_count:     14
    .sgpr_spill_count: 0
    .symbol:         _ZN9rocsparseL26gebsr2gebsc_permute_kernelILj512EdEEviiPKiPKT0_S2_PiPS3_.kd
    .uniform_work_group_size: 1
    .uses_dynamic_stack: false
    .vgpr_count:     6
    .vgpr_spill_count: 0
    .wavefront_size: 32
  - .args:
      - .offset:         0
        .size:           4
        .value_kind:     by_value
      - .offset:         4
        .size:           4
        .value_kind:     by_value
      - .address_space:  global
        .offset:         8
        .size:           8
        .value_kind:     global_buffer
      - .address_space:  global
        .offset:         16
        .size:           8
        .value_kind:     global_buffer
      - .address_space:  global
        .offset:         24
        .size:           8
        .value_kind:     global_buffer
      - .address_space:  global
        .offset:         32
        .size:           8
        .value_kind:     global_buffer
      - .address_space:  global
        .offset:         40
        .size:           8
        .value_kind:     global_buffer
    .group_segment_fixed_size: 0
    .kernarg_segment_align: 8
    .kernarg_segment_size: 48
    .language:       OpenCL C
    .language_version:
      - 2
      - 0
    .max_flat_workgroup_size: 512
    .name:           _ZN9rocsparseL26gebsr2gebsc_permute_kernelILj512E21rocsparse_complex_numIfEEEviiPKiPKT0_S4_PiPS5_
    .private_segment_fixed_size: 0
    .sgpr_count:     14
    .sgpr_spill_count: 0
    .symbol:         _ZN9rocsparseL26gebsr2gebsc_permute_kernelILj512E21rocsparse_complex_numIfEEEviiPKiPKT0_S4_PiPS5_.kd
    .uniform_work_group_size: 1
    .uses_dynamic_stack: false
    .vgpr_count:     6
    .vgpr_spill_count: 0
    .wavefront_size: 32
  - .args:
      - .offset:         0
        .size:           4
        .value_kind:     by_value
      - .offset:         4
        .size:           4
        .value_kind:     by_value
      - .address_space:  global
        .offset:         8
        .size:           8
        .value_kind:     global_buffer
      - .address_space:  global
        .offset:         16
        .size:           8
        .value_kind:     global_buffer
      - .address_space:  global
        .offset:         24
        .size:           8
        .value_kind:     global_buffer
      - .address_space:  global
        .offset:         32
        .size:           8
        .value_kind:     global_buffer
      - .address_space:  global
        .offset:         40
        .size:           8
        .value_kind:     global_buffer
    .group_segment_fixed_size: 0
    .kernarg_segment_align: 8
    .kernarg_segment_size: 48
    .language:       OpenCL C
    .language_version:
      - 2
      - 0
    .max_flat_workgroup_size: 512
    .name:           _ZN9rocsparseL26gebsr2gebsc_permute_kernelILj512E21rocsparse_complex_numIdEEEviiPKiPKT0_S4_PiPS5_
    .private_segment_fixed_size: 0
    .sgpr_count:     14
    .sgpr_spill_count: 0
    .symbol:         _ZN9rocsparseL26gebsr2gebsc_permute_kernelILj512E21rocsparse_complex_numIdEEEviiPKiPKT0_S4_PiPS5_.kd
    .uniform_work_group_size: 1
    .uses_dynamic_stack: false
    .vgpr_count:     8
    .vgpr_spill_count: 0
    .wavefront_size: 32
amdhsa.target:   amdgcn-amd-amdhsa--gfx1250
amdhsa.version:
  - 1
  - 2
...

	.end_amdgpu_metadata
